;; amdgpu-corpus repo=zjin-lcf/HeCBench kind=compiled arch=gfx950 opt=O3
	.amdgcn_target "amdgcn-amd-amdhsa--gfx950"
	.amdhsa_code_object_version 6
	.text
	.protected	_Z3attPKiS0_PfS1_S1_S1_S1_iii ; -- Begin function _Z3attPKiS0_PfS1_S1_S1_S1_iii
	.globl	_Z3attPKiS0_PfS1_S1_S1_S1_iii
	.p2align	8
	.type	_Z3attPKiS0_PfS1_S1_S1_S1_iii,@function
_Z3attPKiS0_PfS1_S1_S1_S1_iii:          ; @_Z3attPKiS0_PfS1_S1_S1_S1_iii
; %bb.0:
	s_load_dword s3, s[0:1], 0x54
	s_load_dwordx4 s[8:11], s[0:1], 0x38
	s_waitcnt lgkmcnt(0)
	s_and_b32 s3, s3, 0xffff
	s_mul_i32 s2, s2, s3
	v_add_u32_e32 v0, s2, v0
	v_cmp_gt_i32_e32 vcc, s10, v0
	s_and_saveexec_b64 s[2:3], vcc
	s_cbranch_execz .LBB0_18
; %bb.1:
	s_load_dwordx4 s[12:15], s[0:1], 0x0
	s_load_dwordx2 s[6:7], s[0:1], 0x18
	v_ashrrev_i32_e32 v1, 31, v0
	v_lshlrev_b64 v[0:1], 2, v[0:1]
	s_load_dwordx2 s[10:11], s[0:1], 0x30
	s_waitcnt lgkmcnt(0)
	v_lshl_add_u64 v[2:3], s[12:13], 0, v[0:1]
	v_lshl_add_u64 v[0:1], s[14:15], 0, v[0:1]
	global_load_dword v12, v[2:3], off
	global_load_dword v4, v[0:1], off
	s_mul_i32 s2, s9, s8
	s_ashr_i32 s13, s9, 31
	s_mov_b32 s12, s9
	s_lshl_b64 s[4:5], s[12:13], 2
	s_waitcnt vmcnt(1)
	v_mul_lo_u32 v0, s2, v12
	s_waitcnt vmcnt(0)
	v_mul_lo_u32 v2, v4, s9
	v_ashrrev_i32_e32 v1, 31, v0
	v_ashrrev_i32_e32 v3, 31, v2
	v_cmp_ne_u32_e32 vcc, 0, v4
	s_and_saveexec_b64 s[2:3], vcc
	s_xor_b64 s[14:15], exec, s[2:3]
	s_cbranch_execz .LBB0_11
; %bb.2:
	s_add_i32 s2, s8, -1
	v_cmp_ne_u32_e32 vcc, s2, v4
	v_add_u32_e32 v4, -1, v4
	v_mul_lo_u32 v10, v4, s9
	v_lshl_add_u64 v[8:9], v[0:1], 2, s[6:7]
	v_ashrrev_i32_e32 v11, 31, v10
	v_lshl_add_u64 v[4:5], v[10:11], 2, v[8:9]
	v_lshl_add_u64 v[6:7], v[2:3], 2, v[8:9]
	s_and_saveexec_b64 s[2:3], vcc
	s_xor_b64 s[16:17], exec, s[2:3]
	s_cbranch_execz .LBB0_6
; %bb.3:
	s_cmp_lt_i32 s9, 1
	s_cbranch_scc1 .LBB0_6
; %bb.4:
	v_lshl_add_u32 v10, s9, 1, v10
	v_ashrrev_i32_e32 v11, 31, v10
	v_lshl_add_u64 v[8:9], v[10:11], 2, v[8:9]
	s_lshl_b64 s[18:19], s[12:13], 3
	s_mov_b32 s8, 0x3e4ccccd
	s_mov_b32 s22, 0x3ca3d70b
	v_mov_b32_e32 v10, 0
	s_mov_b64 s[20:21], s[10:11]
	s_mov_b32 s23, s9
.LBB0_5:                                ; =>This Inner Loop Header: Depth=1
	global_load_dword v11, v[4:5], off
	global_load_dword v13, v[8:9], off
	;; [unrolled: 1-line block ×3, first 2 shown]
	s_add_u32 s24, s20, s4
	s_addc_u32 s25, s21, s5
	s_add_u32 s26, s20, s18
	s_addc_u32 s27, s21, s19
	s_add_i32 s23, s23, -1
	v_lshl_add_u64 v[4:5], v[4:5], 0, 4
	v_lshl_add_u64 v[6:7], v[6:7], 0, 4
	;; [unrolled: 1-line block ×3, first 2 shown]
	s_waitcnt vmcnt(1)
	v_sub_f32_e32 v15, v11, v13
	s_waitcnt vmcnt(0)
	v_fmac_f32_e32 v11, -2.0, v14
	v_div_scale_f32 v16, s[2:3], s8, s8, v15
	v_add_f32_e32 v11, v13, v11
	v_rcp_f32_e32 v13, v16
	v_div_scale_f32 v18, s[2:3], s22, s22, v11
	v_rcp_f32_e32 v20, v18
	v_fma_f32 v21, -v16, v13, 1.0
	v_div_scale_f32 v17, vcc, v15, s8, v15
	v_fmac_f32_e32 v13, v21, v13
	v_fma_f32 v21, -v18, v20, 1.0
	v_div_scale_f32 v19, s[2:3], v11, s22, v11
	v_mul_f32_e32 v22, v17, v13
	v_fmac_f32_e32 v20, v21, v20
	v_fma_f32 v21, -v16, v22, v17
	v_mul_f32_e32 v23, v19, v20
	v_fmac_f32_e32 v22, v21, v13
	v_fma_f32 v21, -v18, v23, v19
	v_fma_f32 v16, -v16, v22, v17
	v_fmac_f32_e32 v23, v21, v20
	v_div_fmas_f32 v13, v16, v13, v22
	v_fma_f32 v16, -v18, v23, v19
	s_mov_b64 vcc, s[2:3]
	v_div_fixup_f32 v13, v13, s8, v15
	v_div_fmas_f32 v15, v16, v20, v23
	v_div_fixup_f32 v11, v15, s22, v11
	v_fmac_f32_e32 v14, 0x3e99999a, v13
	v_mul_f32_e32 v15, 0x3e99999a, v11
	v_add_f32_e32 v16, v11, v11
	v_fmac_f32_e32 v14, 0x3e99999a, v15
	v_fmac_f32_e32 v13, 0x3e99999a, v16
	global_store_dword v10, v14, s[20:21]
	global_store_dword v10, v13, s[24:25]
	s_add_u32 s20, s20, 4
	s_addc_u32 s21, s21, 0
	s_cmp_lg_u32 s23, 0
	global_store_dword v10, v11, s[26:27]
	s_cbranch_scc1 .LBB0_5
.LBB0_6:
	s_andn2_saveexec_b64 s[2:3], s[16:17]
	s_cbranch_execz .LBB0_10
; %bb.7:
	s_cmp_lt_i32 s9, 1
	s_cbranch_scc1 .LBB0_10
; %bb.8:
	s_lshl_b64 s[16:17], s[12:13], 3
	s_mov_b32 s8, 0x3dcccccd
	v_mov_b32_e32 v8, 0
	s_mov_b64 s[18:19], s[10:11]
	s_mov_b32 s20, s9
.LBB0_9:                                ; =>This Inner Loop Header: Depth=1
	global_load_dword v9, v[4:5], off
	global_load_dword v10, v[6:7], off
	s_add_u32 s22, s18, s4
	s_addc_u32 s23, s19, s5
	s_add_u32 s24, s18, s16
	s_addc_u32 s25, s19, s17
	s_add_i32 s20, s20, -1
	v_lshl_add_u64 v[4:5], v[4:5], 0, 4
	v_lshl_add_u64 v[6:7], v[6:7], 0, 4
	s_waitcnt vmcnt(0)
	v_sub_f32_e32 v9, v10, v9
	v_div_scale_f32 v11, s[26:27], s8, s8, v9
	v_rcp_f32_e32 v14, v11
	v_div_scale_f32 v13, vcc, v9, s8, v9
	v_fma_f32 v15, -v11, v14, 1.0
	v_fmac_f32_e32 v14, v15, v14
	v_mul_f32_e32 v15, v13, v14
	v_fma_f32 v16, -v11, v15, v13
	v_fmac_f32_e32 v15, v16, v14
	v_fma_f32 v11, -v11, v15, v13
	v_div_fmas_f32 v11, v11, v14, v15
	v_div_fixup_f32 v9, v11, s8, v9
	v_fmac_f32_e32 v10, 0x3e99999a, v9
	global_store_dword v8, v9, s[22:23]
	global_store_dword v8, v10, s[18:19]
	s_add_u32 s18, s18, 4
	s_addc_u32 s19, s19, 0
	s_cmp_eq_u32 s20, 0
	global_store_dword v8, v8, s[24:25]
	s_cbranch_scc0 .LBB0_9
.LBB0_10:
	s_or_b64 exec, exec, s[2:3]
.LBB0_11:
	s_andn2_saveexec_b64 s[2:3], s[14:15]
	s_cbranch_execz .LBB0_15
; %bb.12:
	s_cmp_lt_i32 s9, 1
	s_cbranch_scc1 .LBB0_15
; %bb.13:
	v_lshl_add_u64 v[4:5], v[0:1], 2, s[6:7]
	v_lshlrev_b64 v[6:7], 2, v[2:3]
	s_lshl_b64 s[6:7], s[12:13], 3
	s_mov_b32 s8, 0x3dcccccd
	v_mov_b32_e32 v8, 0
	s_mov_b64 s[12:13], s[10:11]
	s_mov_b32 s14, s9
.LBB0_14:                               ; =>This Inner Loop Header: Depth=1
	v_lshl_add_u64 v[10:11], v[4:5], 0, v[6:7]
	v_lshl_add_u64 v[14:15], v[4:5], 0, s[4:5]
	global_load_dword v9, v[10:11], off
	global_load_dword v13, v[14:15], off
	s_add_u32 s16, s12, s4
	s_addc_u32 s17, s13, s5
	s_add_u32 s18, s12, s6
	s_addc_u32 s19, s13, s7
	s_add_i32 s14, s14, -1
	v_lshl_add_u64 v[4:5], v[4:5], 0, 4
	s_waitcnt vmcnt(0)
	v_sub_f32_e32 v10, v13, v9
	v_div_scale_f32 v11, s[20:21], s8, s8, v10
	v_rcp_f32_e32 v14, v11
	v_div_scale_f32 v13, vcc, v10, s8, v10
	v_fma_f32 v15, -v11, v14, 1.0
	v_fmac_f32_e32 v14, v15, v14
	v_mul_f32_e32 v15, v13, v14
	v_fma_f32 v16, -v11, v15, v13
	v_fmac_f32_e32 v15, v16, v14
	v_fma_f32 v11, -v11, v15, v13
	v_div_fmas_f32 v11, v11, v14, v15
	v_div_fixup_f32 v10, v11, s8, v10
	v_fmac_f32_e32 v9, 0x3e99999a, v10
	global_store_dword v8, v10, s[16:17]
	global_store_dword v8, v9, s[12:13]
	s_add_u32 s12, s12, 4
	s_addc_u32 s13, s13, 0
	s_cmp_eq_u32 s14, 0
	global_store_dword v8, v8, s[18:19]
	s_cbranch_scc0 .LBB0_14
.LBB0_15:
	s_or_b64 exec, exec, s[2:3]
	s_cmp_lt_i32 s9, 1
	s_cbranch_scc1 .LBB0_18
; %bb.16:
	s_add_u32 s8, s10, s4
	s_addc_u32 s33, s11, s5
	s_add_u32 s34, s8, s4
	s_addc_u32 s35, s33, s5
	;; [unrolled: 2-line block ×10, first 2 shown]
	s_load_dwordx2 s[2:3], s[0:1], 0x10
	s_load_dwordx4 s[12:15], s[0:1], 0x20
	s_add_u32 s52, s50, s4
	s_addc_u32 s53, s51, s5
	s_add_u32 s54, s52, s4
	v_mul_lo_u32 v4, v12, s9
	s_addc_u32 s55, s53, s5
	s_waitcnt lgkmcnt(0)
	v_lshl_add_u64 v[0:1], v[0:1], 2, s[2:3]
	s_add_u32 s56, s54, s4
	v_ashrrev_i32_e32 v5, 31, v4
	v_lshl_add_u64 v[0:1], v[2:3], 2, v[0:1]
	s_addc_u32 s57, s55, s5
	v_lshl_add_u64 v[2:3], v[4:5], 2, s[12:13]
	s_mov_b64 s[12:13], 0
	v_mov_b32_e32 v14, 0
	s_mov_b32 s58, 0x3f333333
	s_mov_b32 s59, 0xbfb8aa3b
	;; [unrolled: 1-line block ×4, first 2 shown]
	v_mov_b32_e32 v15, 0x7f800000
	v_mov_b32_e32 v4, 1.0
	v_mov_b32_e32 v16, 0xc0400000
	v_mov_b32_e32 v6, 2.0
                                        ; implicit-def: $vgpr5
.LBB0_17:                               ; =>This Inner Loop Header: Depth=1
	s_add_u32 s0, s36, s12
	s_addc_u32 s1, s37, s13
	v_lshl_add_u64 v[10:11], v[2:3], 0, s[12:13]
	s_add_u32 s6, s38, s12
	global_load_dword v11, v[10:11], off
	s_addc_u32 s7, s39, s13
	s_add_u32 s4, s40, s12
	s_addc_u32 s5, s41, s13
	s_add_u32 s2, s42, s12
	;; [unrolled: 2-line block ×4, first 2 shown]
	s_addc_u32 s17, s11, s13
	global_load_dword v19, v14, s[16:17]
	s_add_u32 s16, s14, s12
	s_addc_u32 s17, s15, s13
	global_load_dword v12, v14, s[16:17]
	s_add_u32 s20, s8, s12
	;; [unrolled: 3-line block ×3, first 2 shown]
	s_addc_u32 s21, s35, s13
	global_load_dword v29, v14, s[20:21]
	v_lshl_add_u64 v[8:9], v[0:1], 0, s[12:13]
	global_load_dword v17, v[8:9], off
	s_add_u32 s22, s46, s12
	s_addc_u32 s23, s47, s13
	s_add_u32 s20, s48, s12
	s_addc_u32 s21, s49, s13
	;; [unrolled: 2-line block ×6, first 2 shown]
	s_add_i32 s9, s9, -1
	s_add_u32 s12, s12, 4
	s_addc_u32 s13, s13, 0
	s_cmp_lg_u32 s9, 0
	s_waitcnt vmcnt(5)
	v_mul_f32_e32 v20, 0x3f333333, v11
	v_fmamk_f32 v5, v11, 0x3f333333, v16
	v_mul_f32_e32 v10, 0xbfb8aa3b, v20
	v_fmaak_f32 v26, v20, v5, 0x40c00000
	v_fma_f32 v5, v20, s59, -v10
	v_rndne_f32_e32 v18, v10
	v_fmac_f32_e32 v5, 0xb2a5705f, v20
	v_sub_f32_e32 v10, v10, v18
	v_add_f32_e32 v5, v10, v5
	v_cvt_i32_f32_e32 v18, v18
	v_exp_f32_e32 v5, v5
	v_cmp_nlt_f32_e32 vcc, s60, v20
	v_mov_b32_e32 v21, v11
	s_waitcnt vmcnt(4)
	v_mov_b32_e32 v10, v19
	v_ldexp_f32 v5, v5, v18
	v_cndmask_b32_e32 v5, 0, v5, vcc
	v_cmp_ngt_f32_e32 vcc, s61, v20
	v_mov_b32_e32 v22, v19
	v_pk_mul_f32 v[24:25], v[10:11], v[20:21]
	v_cndmask_b32_e32 v18, v15, v5, vcc
	s_waitcnt vmcnt(3)
	v_mul_f32_e32 v5, v11, v12
	v_pk_add_f32 v[18:19], v[4:5], v[18:19] neg_lo:[0,1] neg_hi:[0,1]
	v_mov_b32_e32 v7, v11
	v_mul_f32_e32 v5, 0x40c00000, v18
	v_fma_f32 v10, v18, v19, v24
	v_mov_b32_e32 v19, v25
	global_store_dword v14, v11, s[0:1]
	v_fma_f32 v26, v20, v26, -v5
	v_pk_mul_f32 v[30:31], v[6:7], v[18:19]
	v_div_scale_f32 v5, s[0:1], v25, v25, v10
	global_store_dword v14, v20, s[6:7]
	global_store_dword v14, v25, s[4:5]
	v_mul_f32_e32 v27, 0x40400000, v25
	global_store_dword v14, v18, s[2:3]
	s_waitcnt vmcnt(6)
	v_mul_f32_e32 v23, 0x3f666666, v13
	v_fma_f32 v19, v11, s58, -v18
	v_div_scale_f32 v13, s[2:3], v31, v31, v30
	v_rcp_f32_e32 v33, v5
	s_waitcnt vmcnt(5)
	v_mul_f32_e32 v24, 0x3e99999a, v29
	v_sub_f32_e32 v28, 1.0, v18
	v_pk_mul_f32 v[18:19], v[22:23], v[18:19]
	v_rcp_f32_e32 v22, v13
	v_pk_mul_f32 v[26:27], v[26:27], v[24:25]
	v_div_scale_f32 v34, s[2:3], v25, v25, v19
	v_mov_b32_e32 v29, v24
	v_div_scale_f32 v24, s[6:7], v27, v27, v26
	v_rcp_f32_e32 v39, v34
	v_rcp_f32_e32 v41, v24
	v_div_scale_f32 v36, s[4:5], v11, v11, v18
	v_fma_f32 v42, -v5, v33, 1.0
	v_div_scale_f32 v7, s[0:1], v10, v25, v10
	v_rcp_f32_e32 v40, v36
	v_fma_f32 v43, -v13, v22, 1.0
	v_fmac_f32_e32 v33, v42, v33
	v_div_scale_f32 v21, vcc, v30, v31, v30
	v_fmac_f32_e32 v22, v43, v22
	v_mul_f32_e32 v42, v7, v33
	v_fma_f32 v43, -v34, v39, 1.0
	v_mul_f32_e32 v45, v21, v22
	v_fma_f32 v46, -v5, v42, v7
	v_fma_f32 v47, -v24, v41, 1.0
	v_div_scale_f32 v38, s[6:7], v26, v27, v26
	v_fmac_f32_e32 v39, v43, v39
	v_fma_f32 v43, -v13, v45, v21
	v_fmac_f32_e32 v42, v46, v33
	v_fmac_f32_e32 v41, v47, v41
	v_div_scale_f32 v35, s[2:3], v19, v25, v19
	v_fma_f32 v44, -v36, v40, 1.0
	v_fmac_f32_e32 v45, v43, v22
	v_fma_f32 v5, -v5, v42, v7
	v_mul_f32_e32 v7, v38, v41
	v_div_scale_f32 v37, s[4:5], v18, v11, v18
	v_fmac_f32_e32 v40, v44, v40
	v_mul_f32_e32 v44, v35, v39
	v_fma_f32 v13, -v13, v45, v21
	v_fma_f32 v21, -v24, v7, v38
	v_mul_f32_e32 v46, v37, v40
	v_fma_f32 v43, -v34, v44, v35
	v_div_fmas_f32 v13, v13, v22, v45
	v_fmac_f32_e32 v7, v21, v41
	s_mov_b64 vcc, s[0:1]
	v_fma_f32 v32, v11, s58, -2.0
	v_fma_f32 v47, -v36, v46, v37
	v_fmac_f32_e32 v44, v43, v39
	v_div_fixup_f32 v13, v13, v31, v30
	v_div_fmas_f32 v5, v5, v33, v42
	v_fma_f32 v24, -v24, v7, v38
	s_mov_b64 vcc, s[6:7]
	v_fmac_f32_e32 v46, v47, v40
	v_fma_f32 v21, -v34, v44, v35
	v_fmac_f32_e32 v13, v20, v32
	v_div_fixup_f32 v5, v5, v25, v10
	v_div_fmas_f32 v7, v24, v41, v7
	s_mov_b64 vcc, s[2:3]
	v_fma_f32 v22, -v36, v46, v37
	v_fmac_f32_e32 v5, v13, v23
	v_div_fixup_f32 v7, v7, v27, v26
	v_div_fmas_f32 v10, v21, v39, v44
	s_mov_b64 vcc, s[4:5]
	v_add_f32_e32 v5, v5, v7
	v_div_fixup_f32 v7, v10, v25, v19
	v_div_fmas_f32 v10, v22, v40, v46
	global_store_dword v14, v13, s[18:19]
	global_store_dword v14, v5, s[22:23]
	v_mul_f32_e32 v19, 0.5, v5
	s_waitcnt vmcnt(6)
	v_fmac_f32_e32 v17, 0.5, v5
	v_div_fixup_f32 v5, v10, v11, v18
	v_pk_mul_f32 v[12:13], v[12:13], v[28:29]
	global_store_dword v14, v19, s[20:21]
	global_store_dword v[8:9], v17, off
	global_store_dword v14, v5, s[24:25]
	global_store_dword v14, v7, s[26:27]
	;; [unrolled: 1-line block ×4, first 2 shown]
	v_add_f32_e32 v5, v5, v7
	v_add_f32_e32 v5, v5, v13
	;; [unrolled: 1-line block ×3, first 2 shown]
	global_store_dword v14, v5, s[16:17]
	s_cbranch_scc1 .LBB0_17
.LBB0_18:
	s_endpgm
	.section	.rodata,"a",@progbits
	.p2align	6, 0x0
	.amdhsa_kernel _Z3attPKiS0_PfS1_S1_S1_S1_iii
		.amdhsa_group_segment_fixed_size 0
		.amdhsa_private_segment_fixed_size 0
		.amdhsa_kernarg_size 328
		.amdhsa_user_sgpr_count 2
		.amdhsa_user_sgpr_dispatch_ptr 0
		.amdhsa_user_sgpr_queue_ptr 0
		.amdhsa_user_sgpr_kernarg_segment_ptr 1
		.amdhsa_user_sgpr_dispatch_id 0
		.amdhsa_user_sgpr_kernarg_preload_length 0
		.amdhsa_user_sgpr_kernarg_preload_offset 0
		.amdhsa_user_sgpr_private_segment_size 0
		.amdhsa_uses_dynamic_stack 0
		.amdhsa_enable_private_segment 0
		.amdhsa_system_sgpr_workgroup_id_x 1
		.amdhsa_system_sgpr_workgroup_id_y 0
		.amdhsa_system_sgpr_workgroup_id_z 0
		.amdhsa_system_sgpr_workgroup_info 0
		.amdhsa_system_vgpr_workitem_id 0
		.amdhsa_next_free_vgpr 48
		.amdhsa_next_free_sgpr 62
		.amdhsa_accum_offset 48
		.amdhsa_reserve_vcc 1
		.amdhsa_float_round_mode_32 0
		.amdhsa_float_round_mode_16_64 0
		.amdhsa_float_denorm_mode_32 3
		.amdhsa_float_denorm_mode_16_64 3
		.amdhsa_dx10_clamp 1
		.amdhsa_ieee_mode 1
		.amdhsa_fp16_overflow 0
		.amdhsa_tg_split 0
		.amdhsa_exception_fp_ieee_invalid_op 0
		.amdhsa_exception_fp_denorm_src 0
		.amdhsa_exception_fp_ieee_div_zero 0
		.amdhsa_exception_fp_ieee_overflow 0
		.amdhsa_exception_fp_ieee_underflow 0
		.amdhsa_exception_fp_ieee_inexact 0
		.amdhsa_exception_int_div_zero 0
	.end_amdhsa_kernel
	.text
.Lfunc_end0:
	.size	_Z3attPKiS0_PfS1_S1_S1_S1_iii, .Lfunc_end0-_Z3attPKiS0_PfS1_S1_S1_S1_iii
                                        ; -- End function
	.set _Z3attPKiS0_PfS1_S1_S1_S1_iii.num_vgpr, 48
	.set _Z3attPKiS0_PfS1_S1_S1_S1_iii.num_agpr, 0
	.set _Z3attPKiS0_PfS1_S1_S1_S1_iii.numbered_sgpr, 62
	.set _Z3attPKiS0_PfS1_S1_S1_S1_iii.num_named_barrier, 0
	.set _Z3attPKiS0_PfS1_S1_S1_S1_iii.private_seg_size, 0
	.set _Z3attPKiS0_PfS1_S1_S1_S1_iii.uses_vcc, 1
	.set _Z3attPKiS0_PfS1_S1_S1_S1_iii.uses_flat_scratch, 0
	.set _Z3attPKiS0_PfS1_S1_S1_S1_iii.has_dyn_sized_stack, 0
	.set _Z3attPKiS0_PfS1_S1_S1_S1_iii.has_recursion, 0
	.set _Z3attPKiS0_PfS1_S1_S1_S1_iii.has_indirect_call, 0
	.section	.AMDGPU.csdata,"",@progbits
; Kernel info:
; codeLenInByte = 2300
; TotalNumSgprs: 68
; NumVgprs: 48
; NumAgprs: 0
; TotalNumVgprs: 48
; ScratchSize: 0
; MemoryBound: 0
; FloatMode: 240
; IeeeMode: 1
; LDSByteSize: 0 bytes/workgroup (compile time only)
; SGPRBlocks: 8
; VGPRBlocks: 5
; NumSGPRsForWavesPerEU: 68
; NumVGPRsForWavesPerEU: 48
; AccumOffset: 48
; Occupancy: 8
; WaveLimiterHint : 1
; COMPUTE_PGM_RSRC2:SCRATCH_EN: 0
; COMPUTE_PGM_RSRC2:USER_SGPR: 2
; COMPUTE_PGM_RSRC2:TRAP_HANDLER: 0
; COMPUTE_PGM_RSRC2:TGID_X_EN: 1
; COMPUTE_PGM_RSRC2:TGID_Y_EN: 0
; COMPUTE_PGM_RSRC2:TGID_Z_EN: 0
; COMPUTE_PGM_RSRC2:TIDIG_COMP_CNT: 0
; COMPUTE_PGM_RSRC3_GFX90A:ACCUM_OFFSET: 11
; COMPUTE_PGM_RSRC3_GFX90A:TG_SPLIT: 0
	.text
	.p2alignl 6, 3212836864
	.fill 256, 4, 3212836864
	.section	.AMDGPU.gpr_maximums,"",@progbits
	.set amdgpu.max_num_vgpr, 0
	.set amdgpu.max_num_agpr, 0
	.set amdgpu.max_num_sgpr, 0
	.text
	.type	__hip_cuid_7c00e88867eca2bb,@object ; @__hip_cuid_7c00e88867eca2bb
	.section	.bss,"aw",@nobits
	.globl	__hip_cuid_7c00e88867eca2bb
__hip_cuid_7c00e88867eca2bb:
	.byte	0                               ; 0x0
	.size	__hip_cuid_7c00e88867eca2bb, 1

	.ident	"AMD clang version 22.0.0git (https://github.com/RadeonOpenCompute/llvm-project roc-7.2.4 26084 f58b06dce1f9c15707c5f808fd002e18c2accf7e)"
	.section	".note.GNU-stack","",@progbits
	.addrsig
	.addrsig_sym __hip_cuid_7c00e88867eca2bb
	.amdgpu_metadata
---
amdhsa.kernels:
  - .agpr_count:     0
    .args:
      - .actual_access:  read_only
        .address_space:  global
        .offset:         0
        .size:           8
        .value_kind:     global_buffer
      - .actual_access:  read_only
        .address_space:  global
        .offset:         8
        .size:           8
        .value_kind:     global_buffer
      - .address_space:  global
        .offset:         16
        .size:           8
        .value_kind:     global_buffer
      - .actual_access:  read_only
        .address_space:  global
        .offset:         24
        .size:           8
        .value_kind:     global_buffer
      - .actual_access:  read_only
        .address_space:  global
        .offset:         32
        .size:           8
        .value_kind:     global_buffer
      - .address_space:  global
        .offset:         40
        .size:           8
        .value_kind:     global_buffer
      - .address_space:  global
        .offset:         48
        .size:           8
        .value_kind:     global_buffer
      - .offset:         56
        .size:           4
        .value_kind:     by_value
      - .offset:         60
        .size:           4
        .value_kind:     by_value
      - .offset:         64
        .size:           4
        .value_kind:     by_value
      - .offset:         72
        .size:           4
        .value_kind:     hidden_block_count_x
      - .offset:         76
        .size:           4
        .value_kind:     hidden_block_count_y
      - .offset:         80
        .size:           4
        .value_kind:     hidden_block_count_z
      - .offset:         84
        .size:           2
        .value_kind:     hidden_group_size_x
      - .offset:         86
        .size:           2
        .value_kind:     hidden_group_size_y
      - .offset:         88
        .size:           2
        .value_kind:     hidden_group_size_z
      - .offset:         90
        .size:           2
        .value_kind:     hidden_remainder_x
      - .offset:         92
        .size:           2
        .value_kind:     hidden_remainder_y
      - .offset:         94
        .size:           2
        .value_kind:     hidden_remainder_z
      - .offset:         112
        .size:           8
        .value_kind:     hidden_global_offset_x
      - .offset:         120
        .size:           8
        .value_kind:     hidden_global_offset_y
      - .offset:         128
        .size:           8
        .value_kind:     hidden_global_offset_z
      - .offset:         136
        .size:           2
        .value_kind:     hidden_grid_dims
    .group_segment_fixed_size: 0
    .kernarg_segment_align: 8
    .kernarg_segment_size: 328
    .language:       OpenCL C
    .language_version:
      - 2
      - 0
    .max_flat_workgroup_size: 1024
    .name:           _Z3attPKiS0_PfS1_S1_S1_S1_iii
    .private_segment_fixed_size: 0
    .sgpr_count:     68
    .sgpr_spill_count: 0
    .symbol:         _Z3attPKiS0_PfS1_S1_S1_S1_iii.kd
    .uniform_work_group_size: 1
    .uses_dynamic_stack: false
    .vgpr_count:     48
    .vgpr_spill_count: 0
    .wavefront_size: 64
amdhsa.target:   amdgcn-amd-amdhsa--gfx950
amdhsa.version:
  - 1
  - 2
...

	.end_amdgpu_metadata
